;; amdgpu-corpus repo=zjin-lcf/HeCBench kind=compiled arch=gfx906 opt=O3
	.amdgcn_target "amdgcn-amd-amdhsa--gfx906"
	.amdhsa_code_object_version 6
	.text
	.protected	_Z5QRdeliPKfS0_S0_S0_PfS1_S1_S1_S1_S1_S1_S1_ ; -- Begin function _Z5QRdeliPKfS0_S0_S0_PfS1_S1_S1_S1_S1_S1_S1_
	.globl	_Z5QRdeliPKfS0_S0_S0_PfS1_S1_S1_S1_S1_S1_S1_
	.p2align	8
	.type	_Z5QRdeliPKfS0_S0_S0_PfS1_S1_S1_S1_S1_S1_S1_,@function
_Z5QRdeliPKfS0_S0_S0_PfS1_S1_S1_S1_S1_S1_S1_: ; @_Z5QRdeliPKfS0_S0_S0_PfS1_S1_S1_S1_S1_S1_S1_
; %bb.0:
	s_load_dword s0, s[4:5], 0x74
	s_load_dword s1, s[4:5], 0x0
	s_waitcnt lgkmcnt(0)
	s_and_b32 s0, s0, 0xffff
	s_mul_i32 s6, s6, s0
	v_add_u32_e32 v0, s6, v0
	v_cmp_gt_i32_e32 vcc, s1, v0
	s_and_saveexec_b64 s[0:1], vcc
	s_cbranch_execz .LBB0_2
; %bb.1:
	s_load_dwordx8 s[8:15], s[4:5], 0x8
	v_ashrrev_i32_e32 v1, 31, v0
	v_lshlrev_b64 v[0:1], 2, v[0:1]
	s_mov_b32 s24, 0x40400000
	s_mov_b32 s25, 0xc1100000
	s_waitcnt lgkmcnt(0)
	v_mov_b32_e32 v3, s11
	v_add_co_u32_e32 v2, vcc, s10, v0
	v_addc_co_u32_e32 v3, vcc, v3, v1, vcc
	global_load_dword v4, v[2:3], off
	v_mov_b32_e32 v3, s9
	v_add_co_u32_e32 v2, vcc, s8, v0
	v_addc_co_u32_e32 v3, vcc, v3, v1, vcc
	global_load_dword v2, v[2:3], off
	;; [unrolled: 4-line block ×4, first 2 shown]
	s_mov_b32 s26, 0x40c00000
	s_mov_b32 s27, 0xc1d80000
	s_load_dwordx8 s[8:15], s[4:5], 0x28
	s_load_dwordx8 s[16:23], s[4:5], 0x48
	s_waitcnt vmcnt(2)
	v_div_scale_f32 v5, s[0:1], v2, v2, v4
	v_div_scale_f32 v8, vcc, v4, v2, v4
	s_waitcnt vmcnt(1)
	v_div_scale_f32 v7, s[0:1], v2, v2, v6
	v_div_scale_f32 v9, s[0:1], v6, v2, v6
	s_waitcnt vmcnt(0)
	v_div_scale_f32 v12, s[2:3], v2, v2, v3
	v_rcp_f32_e32 v10, v5
	v_fma_f32 v13, -v5, v10, 1.0
	v_fmac_f32_e32 v10, v13, v10
	v_rcp_f32_e32 v11, v7
	v_mul_f32_e32 v13, v8, v10
	v_fma_f32 v15, -v5, v13, v8
	v_fmac_f32_e32 v13, v15, v10
	v_fma_f32 v14, -v7, v11, 1.0
	v_fmac_f32_e32 v11, v14, v11
	v_mul_f32_e32 v14, v9, v11
	v_fma_f32 v16, -v7, v14, v9
	v_fmac_f32_e32 v14, v16, v11
	v_fma_f32 v5, -v5, v13, v8
	v_fma_f32 v7, -v7, v14, v9
	v_div_fmas_f32 v5, v5, v10, v13
	s_mov_b64 vcc, s[0:1]
	v_div_fmas_f32 v7, v7, v11, v14
	v_div_scale_f32 v8, vcc, v3, v2, v3
	v_rcp_f32_e32 v9, v12
	v_fma_f32 v10, -v12, v9, 1.0
	v_fmac_f32_e32 v9, v10, v9
	v_div_fixup_f32 v4, v5, v2, v4
	v_mul_f32_e32 v5, 0x3f400000, v4
	v_div_fixup_f32 v4, v7, v2, v6
	v_mul_f32_e32 v4, 0.5, v4
	v_div_scale_f32 v6, s[0:1], s24, s24, v4
	v_mul_f32_e32 v10, v5, v5
	v_div_scale_f32 v7, s[0:1], s25, s25, v10
	v_mul_f32_e32 v11, v8, v9
	v_fma_f32 v13, -v12, v11, v8
	v_fmac_f32_e32 v11, v13, v9
	v_fma_f32 v8, -v12, v11, v8
	v_div_scale_f32 v12, s[0:1], v4, s24, v4
	v_div_fmas_f32 v11, v8, v9, v11
	v_div_scale_f32 v8, s[2:3], v10, s25, v10
	v_mul_f32_e32 v13, v5, v4
	v_mul_f32_e32 v14, v5, v10
	v_rcp_f32_e32 v15, v6
	v_div_scale_f32 v9, s[6:7], s26, s26, v13
	v_rcp_f32_e32 v16, v7
	v_div_scale_f32 v17, s[6:7], s27, s27, v14
	v_fma_f32 v18, -v6, v15, 1.0
	v_fmac_f32_e32 v15, v18, v15
	v_fma_f32 v19, -v7, v16, 1.0
	v_mul_f32_e32 v18, v12, v15
	v_fmac_f32_e32 v16, v19, v16
	v_fma_f32 v19, -v6, v18, v12
	v_fmac_f32_e32 v18, v19, v15
	v_fma_f32 v6, -v6, v18, v12
	v_div_scale_f32 v12, s[6:7], v13, s26, v13
	s_mov_b64 vcc, s[0:1]
	v_div_fmas_f32 v15, v6, v15, v18
	v_mul_f32_e32 v6, v8, v16
	v_fma_f32 v18, -v7, v6, v8
	v_fmac_f32_e32 v6, v18, v16
	v_rcp_f32_e32 v18, v9
	v_fma_f32 v7, -v7, v6, v8
	v_rcp_f32_e32 v8, v17
	s_mov_b64 vcc, s[2:3]
	s_waitcnt lgkmcnt(0)
	v_mov_b32_e32 v19, s9
	v_div_fmas_f32 v16, v7, v16, v6
	v_add_co_u32_e32 v6, vcc, s8, v0
	v_addc_co_u32_e32 v7, vcc, v19, v1, vcc
	v_fma_f32 v19, -v9, v18, 1.0
	v_fmac_f32_e32 v18, v19, v18
	v_fma_f32 v19, -v17, v8, 1.0
	v_fmac_f32_e32 v8, v19, v8
	v_mul_f32_e32 v19, v12, v18
	v_fma_f32 v20, -v9, v19, v12
	v_fmac_f32_e32 v19, v20, v18
	v_fma_f32 v9, -v9, v19, v12
	v_div_scale_f32 v12, s[0:1], v14, s27, v14
	s_mov_b64 vcc, s[6:7]
	v_div_fmas_f32 v18, v9, v18, v19
	s_mov_b64 vcc, s[0:1]
	v_div_fixup_f32 v11, v11, v2, v3
	v_mul_f32_e32 v20, 0x3e800000, v11
	v_div_fixup_f32 v11, v15, s24, v4
	v_div_fixup_f32 v10, v16, s25, v10
	v_add_f32_e32 v10, v11, v10
	v_mul_f32_e32 v10, 0x47c35000, v10
	s_brev_b32 s3, -2
	s_mov_b32 s2, 0x47c35000
	global_store_dword v[6:7], v5, off
	v_mul_f32_e32 v9, v12, v8
	v_fma_f32 v19, -v17, v9, v12
	v_fmac_f32_e32 v9, v19, v8
	v_fma_f32 v12, -v17, v9, v12
	v_div_fmas_f32 v12, v12, v8, v9
	v_div_fixup_f32 v11, v18, s26, v13
	v_mov_b32_e32 v19, s11
	v_add_co_u32_e32 v8, vcc, s10, v0
	v_addc_co_u32_e32 v9, vcc, v19, v1, vcc
	v_mov_b32_e32 v17, s13
	v_add_co_u32_e32 v2, vcc, s12, v0
	v_addc_co_u32_e32 v3, vcc, v17, v1, vcc
	v_mov_b32_e32 v19, s15
	v_mov_b32_e32 v17, s17
	global_store_dword v[2:3], v20, off
	global_store_dword v[8:9], v4, off
	v_div_fixup_f32 v12, v12, s27, v14
	v_add_f32_e32 v11, v11, v12
	v_trunc_f32_e32 v12, v10
	v_sub_f32_e32 v13, v10, v12
	v_cmp_ge_f32_e64 s[0:1], |v13|, 0.5
	v_cndmask_b32_e64 v13, 0, 1.0, s[0:1]
	v_bfi_b32 v10, s3, v13, v10
	v_add_f32_e32 v14, v12, v10
	v_div_scale_f32 v12, s[0:1], s2, s2, v14
	v_div_scale_f32 v15, vcc, v14, s2, v14
	v_fmac_f32_e32 v11, -0.5, v20
	v_mul_f32_e32 v11, 0x47c35000, v11
	v_trunc_f32_e32 v10, v11
	v_sub_f32_e32 v13, v11, v10
	v_cmp_ge_f32_e64 s[0:1], |v13|, 0.5
	v_cndmask_b32_e64 v13, 0, 1.0, s[0:1]
	v_bfi_b32 v11, s3, v13, v11
	v_add_f32_e32 v16, v10, v11
	v_div_scale_f32 v13, s[0:1], s2, s2, v16
	v_add_co_u32_e64 v10, s[0:1], s14, v0
	v_rcp_f32_e32 v7, v12
	v_addc_co_u32_e64 v11, s[0:1], v19, v1, s[0:1]
	v_add_co_u32_e64 v5, s[0:1], s16, v0
	v_addc_co_u32_e64 v6, s[0:1], v17, v1, s[0:1]
	v_fma_f32 v17, -v12, v7, 1.0
	v_fmac_f32_e32 v7, v17, v7
	v_mul_f32_e32 v17, v15, v7
	v_fma_f32 v18, -v12, v17, v15
	v_fmac_f32_e32 v17, v18, v7
	v_fma_f32 v12, -v12, v17, v15
	v_div_scale_f32 v15, s[0:1], v16, s2, v16
	v_rcp_f32_e32 v18, v13
	v_div_fmas_f32 v17, v12, v7, v17
	s_mov_b64 vcc, s[0:1]
	v_fma_f32 v19, -v13, v18, 1.0
	v_fmac_f32_e32 v18, v19, v18
	v_mov_b32_e32 v19, s19
	v_mul_f32_e32 v7, v15, v18
	v_fma_f32 v12, -v13, v7, v15
	v_fmac_f32_e32 v7, v12, v18
	v_fma_f32 v12, -v13, v7, v15
	v_div_fmas_f32 v18, v12, v18, v7
	v_add_co_u32_e32 v12, vcc, s18, v0
	v_addc_co_u32_e32 v13, vcc, v19, v1, vcc
	v_div_fixup_f32 v2, v17, s2, v14
	v_mov_b32_e32 v15, s21
	v_add_co_u32_e32 v7, vcc, s20, v0
	v_mul_f32_e32 v3, v2, v2
	v_addc_co_u32_e32 v8, vcc, v15, v1, vcc
	v_mul_f32_e32 v4, v2, v3
	v_mov_b32_e32 v19, s23
	global_store_dword v[10:11], v2, off
	v_add_co_u32_e32 v0, vcc, s22, v0
	v_div_fixup_f32 v9, v18, s2, v16
	global_store_dword v[12:13], v4, off
	global_store_dword v[5:6], v9, off
	v_mul_f32_e32 v4, v9, v9
	global_store_dword v[7:8], v4, off
	v_fmac_f32_e32 v4, v2, v3
	v_addc_co_u32_e32 v1, vcc, v19, v1, vcc
	global_store_dword v[0:1], v4, off
.LBB0_2:
	s_endpgm
	.section	.rodata,"a",@progbits
	.p2align	6, 0x0
	.amdhsa_kernel _Z5QRdeliPKfS0_S0_S0_PfS1_S1_S1_S1_S1_S1_S1_
		.amdhsa_group_segment_fixed_size 0
		.amdhsa_private_segment_fixed_size 0
		.amdhsa_kernarg_size 360
		.amdhsa_user_sgpr_count 6
		.amdhsa_user_sgpr_private_segment_buffer 1
		.amdhsa_user_sgpr_dispatch_ptr 0
		.amdhsa_user_sgpr_queue_ptr 0
		.amdhsa_user_sgpr_kernarg_segment_ptr 1
		.amdhsa_user_sgpr_dispatch_id 0
		.amdhsa_user_sgpr_flat_scratch_init 0
		.amdhsa_user_sgpr_private_segment_size 0
		.amdhsa_uses_dynamic_stack 0
		.amdhsa_system_sgpr_private_segment_wavefront_offset 0
		.amdhsa_system_sgpr_workgroup_id_x 1
		.amdhsa_system_sgpr_workgroup_id_y 0
		.amdhsa_system_sgpr_workgroup_id_z 0
		.amdhsa_system_sgpr_workgroup_info 0
		.amdhsa_system_vgpr_workitem_id 0
		.amdhsa_next_free_vgpr 21
		.amdhsa_next_free_sgpr 28
		.amdhsa_reserve_vcc 1
		.amdhsa_reserve_flat_scratch 0
		.amdhsa_float_round_mode_32 0
		.amdhsa_float_round_mode_16_64 0
		.amdhsa_float_denorm_mode_32 3
		.amdhsa_float_denorm_mode_16_64 3
		.amdhsa_dx10_clamp 1
		.amdhsa_ieee_mode 1
		.amdhsa_fp16_overflow 0
		.amdhsa_exception_fp_ieee_invalid_op 0
		.amdhsa_exception_fp_denorm_src 0
		.amdhsa_exception_fp_ieee_div_zero 0
		.amdhsa_exception_fp_ieee_overflow 0
		.amdhsa_exception_fp_ieee_underflow 0
		.amdhsa_exception_fp_ieee_inexact 0
		.amdhsa_exception_int_div_zero 0
	.end_amdhsa_kernel
	.text
.Lfunc_end0:
	.size	_Z5QRdeliPKfS0_S0_S0_PfS1_S1_S1_S1_S1_S1_S1_, .Lfunc_end0-_Z5QRdeliPKfS0_S0_S0_PfS1_S1_S1_S1_S1_S1_S1_
                                        ; -- End function
	.set _Z5QRdeliPKfS0_S0_S0_PfS1_S1_S1_S1_S1_S1_S1_.num_vgpr, 21
	.set _Z5QRdeliPKfS0_S0_S0_PfS1_S1_S1_S1_S1_S1_S1_.num_agpr, 0
	.set _Z5QRdeliPKfS0_S0_S0_PfS1_S1_S1_S1_S1_S1_S1_.numbered_sgpr, 28
	.set _Z5QRdeliPKfS0_S0_S0_PfS1_S1_S1_S1_S1_S1_S1_.num_named_barrier, 0
	.set _Z5QRdeliPKfS0_S0_S0_PfS1_S1_S1_S1_S1_S1_S1_.private_seg_size, 0
	.set _Z5QRdeliPKfS0_S0_S0_PfS1_S1_S1_S1_S1_S1_S1_.uses_vcc, 1
	.set _Z5QRdeliPKfS0_S0_S0_PfS1_S1_S1_S1_S1_S1_S1_.uses_flat_scratch, 0
	.set _Z5QRdeliPKfS0_S0_S0_PfS1_S1_S1_S1_S1_S1_S1_.has_dyn_sized_stack, 0
	.set _Z5QRdeliPKfS0_S0_S0_PfS1_S1_S1_S1_S1_S1_S1_.has_recursion, 0
	.set _Z5QRdeliPKfS0_S0_S0_PfS1_S1_S1_S1_S1_S1_S1_.has_indirect_call, 0
	.section	.AMDGPU.csdata,"",@progbits
; Kernel info:
; codeLenInByte = 1228
; TotalNumSgprs: 32
; NumVgprs: 21
; ScratchSize: 0
; MemoryBound: 0
; FloatMode: 240
; IeeeMode: 1
; LDSByteSize: 0 bytes/workgroup (compile time only)
; SGPRBlocks: 3
; VGPRBlocks: 5
; NumSGPRsForWavesPerEU: 32
; NumVGPRsForWavesPerEU: 21
; Occupancy: 10
; WaveLimiterHint : 0
; COMPUTE_PGM_RSRC2:SCRATCH_EN: 0
; COMPUTE_PGM_RSRC2:USER_SGPR: 6
; COMPUTE_PGM_RSRC2:TRAP_HANDLER: 0
; COMPUTE_PGM_RSRC2:TGID_X_EN: 1
; COMPUTE_PGM_RSRC2:TGID_Y_EN: 0
; COMPUTE_PGM_RSRC2:TGID_Z_EN: 0
; COMPUTE_PGM_RSRC2:TIDIG_COMP_CNT: 0
	.text
	.protected	_Z13QuarticSolveriPKfS0_S0_S0_S0_S0_S0_S0_PfS1_S1_S1_S1_S1_S1_ ; -- Begin function _Z13QuarticSolveriPKfS0_S0_S0_S0_S0_S0_S0_PfS1_S1_S1_S1_S1_S1_
	.globl	_Z13QuarticSolveriPKfS0_S0_S0_S0_S0_S0_S0_PfS1_S1_S1_S1_S1_S1_
	.p2align	8
	.type	_Z13QuarticSolveriPKfS0_S0_S0_S0_S0_S0_S0_PfS1_S1_S1_S1_S1_S1_,@function
_Z13QuarticSolveriPKfS0_S0_S0_S0_S0_S0_S0_PfS1_S1_S1_S1_S1_S1_: ; @_Z13QuarticSolveriPKfS0_S0_S0_S0_S0_S0_S0_PfS1_S1_S1_S1_S1_S1_
; %bb.0:
	s_load_dword s0, s[4:5], 0x8c
	s_load_dword s1, s[4:5], 0x0
	s_waitcnt lgkmcnt(0)
	s_and_b32 s0, s0, 0xffff
	s_mul_i32 s6, s6, s0
	v_add_u32_e32 v0, s6, v0
	v_cmp_gt_i32_e32 vcc, s1, v0
	s_and_saveexec_b64 s[0:1], vcc
	s_cbranch_execz .LBB1_26
; %bb.1:
	s_load_dwordx16 s[8:23], s[4:5], 0x8
	v_ashrrev_i32_e32 v1, 31, v0
	v_lshlrev_b64 v[0:1], 2, v[0:1]
	s_mov_b32 s0, 0x3727c5ac
	s_waitcnt lgkmcnt(0)
	v_mov_b32_e32 v3, s23
	v_add_co_u32_e32 v2, vcc, s22, v0
	v_addc_co_u32_e32 v3, vcc, v3, v1, vcc
	global_load_dword v3, v[2:3], off
	v_mov_b32_e32 v2, s21
	v_add_co_u32_e32 v4, vcc, s20, v0
	v_addc_co_u32_e32 v5, vcc, v2, v1, vcc
	global_load_dword v2, v[4:5], off
	s_load_dwordx2 s[28:29], s[4:5], 0x78
	s_load_dwordx2 s[30:31], s[4:5], 0x68
	s_load_dwordx4 s[20:23], s[4:5], 0x58
                                        ; implicit-def: $vgpr4
	s_waitcnt vmcnt(1)
	v_cmp_ge_f32_e32 vcc, s0, v3
	s_and_saveexec_b64 s[0:1], vcc
	s_xor_b64 s[34:35], exec, s[0:1]
	s_cbranch_execz .LBB1_23
; %bb.2:
	v_mov_b32_e32 v4, s19
	v_add_co_u32_e32 v3, vcc, s18, v0
	v_addc_co_u32_e32 v4, vcc, v4, v1, vcc
	global_load_dword v3, v[3:4], off
	s_mov_b32 s0, 0xf800000
	v_mov_b32_e32 v11, 0x3e2aaaac
	s_mov_b32 s2, 0x40400000
	s_load_dwordx4 s[24:27], s[4:5], 0x48
	s_mov_b32 s3, 0x4f800000
	s_mov_b32 s6, 0x8f800000
	s_waitcnt vmcnt(0)
	v_mul_f32_e32 v4, v3, v3
	v_mul_f32_e64 v4, v4, -v3
	v_mul_f32_e32 v5, 0x4f800000, v4
	v_cmp_gt_f32_e32 vcc, s0, v4
	v_cndmask_b32_e32 v4, v4, v5, vcc
	v_sqrt_f32_e32 v6, v4
	v_mov_b32_e32 v5, 0x260
	v_add_u32_e32 v7, -1, v6
	v_add_u32_e32 v8, 1, v6
	v_fma_f32 v9, -v7, v6, v4
	v_fma_f32 v10, -v8, v6, v4
	v_cmp_ge_f32_e64 s[0:1], 0, v9
	v_cndmask_b32_e64 v6, v6, v7, s[0:1]
	v_cmp_lt_f32_e64 s[0:1], 0, v10
	v_cndmask_b32_e64 v6, v6, v8, s[0:1]
	v_mul_f32_e32 v7, 0x37800000, v6
	v_cndmask_b32_e32 v6, v6, v7, vcc
	v_cmp_class_f32_e32 vcc, v4, v5
	v_cndmask_b32_e32 v4, v6, v4, vcc
	v_div_scale_f32 v6, s[0:1], v4, v4, v2
	v_div_scale_f32 v7, vcc, v2, v4, v2
	v_rcp_f32_e32 v8, v6
	v_fma_f32 v9, -v6, v8, 1.0
	v_fmac_f32_e32 v8, v9, v8
	v_mul_f32_e32 v9, v7, v8
	v_fma_f32 v10, -v6, v9, v7
	v_fmac_f32_e32 v9, v10, v8
	v_fma_f32 v6, -v6, v9, v7
	v_div_fmas_f32 v6, v6, v8, v9
	v_mov_b32_e32 v7, 0x3c5fc5da
	v_mov_b32_e32 v8, 0x3d034c3c
	v_mov_b32_e32 v9, 0x3d3641b1
	v_mov_b32_e32 v10, 0x3d999bc8
	v_div_fixup_f32 v2, v6, v4, v2
	v_fma_f32 v4, |v2|, -0.5, 0.5
	v_mul_f32_e32 v6, v2, v2
	v_cmp_gt_f32_e64 vcc, |v2|, 0.5
	v_cndmask_b32_e32 v4, v6, v4, vcc
	v_fmac_f32_e32 v7, 0x3d1c21a7, v4
	v_fmac_f32_e32 v8, v4, v7
	v_sqrt_f32_e32 v6, v4
	v_fmac_f32_e32 v9, v4, v8
	v_fmac_f32_e32 v10, v4, v9
	;; [unrolled: 1-line block ×3, first 2 shown]
	v_mul_f32_e32 v4, v4, v11
	v_fmac_f32_e32 v6, v6, v4
	v_add_f32_e32 v6, v6, v6
	v_sub_f32_e32 v7, 0x40490fdb, v6
	v_cmp_gt_f32_e64 s[0:1], 0, v2
	v_fmac_f32_e32 v2, v2, v4
	v_cndmask_b32_e64 v4, v6, v7, s[0:1]
	v_sub_f32_e32 v2, 0x3fc90fdb, v2
	v_cndmask_b32_e32 v4, v2, v4, vcc
	v_div_scale_f32 v2, s[0:1], s2, s2, v4
	v_div_scale_f32 v11, vcc, v4, s2, v4
	s_waitcnt lgkmcnt(0)
	v_mov_b32_e32 v6, s25
	v_add_co_u32_e64 v7, s[0:1], s24, v0
	v_addc_co_u32_e64 v8, s[0:1], v6, v1, s[0:1]
	v_mov_b32_e32 v10, s27
	v_add_co_u32_e64 v9, s[0:1], s26, v0
	v_addc_co_u32_e64 v10, s[0:1], v10, v1, s[0:1]
	v_mul_f32_e64 v6, -v3, s3
	v_cmp_lt_f32_e64 s[0:1], s6, v3
	v_rcp_f32_e32 v12, v2
	v_cndmask_b32_e64 v3, -v3, v6, s[0:1]
	v_sqrt_f32_e32 v6, v3
	v_fma_f32 v13, -v2, v12, 1.0
	v_fmac_f32_e32 v12, v13, v12
	v_mul_f32_e32 v13, v11, v12
	v_fma_f32 v14, -v2, v13, v11
	v_fmac_f32_e32 v13, v14, v12
	v_fma_f32 v2, -v2, v13, v11
	v_div_fmas_f32 v2, v2, v12, v13
	v_add_u32_e32 v11, -1, v6
	v_add_u32_e32 v12, 1, v6
	v_fma_f32 v13, -v11, v6, v3
	v_fma_f32 v14, -v12, v6, v3
	v_cmp_ge_f32_e32 vcc, 0, v13
	v_cndmask_b32_e32 v6, v6, v11, vcc
	v_cmp_lt_f32_e32 vcc, 0, v14
	v_cndmask_b32_e32 v6, v6, v12, vcc
	v_mul_f32_e32 v11, 0x37800000, v6
	v_cndmask_b32_e64 v6, v6, v11, s[0:1]
	v_cmp_class_f32_e32 vcc, v3, v5
	v_cndmask_b32_e32 v3, v6, v3, vcc
	s_brev_b32 s0, 18
	v_add_f32_e32 v6, v3, v3
	global_store_dword v[9:10], v6, off
	global_store_dword v[7:8], v4, off
	v_div_fixup_f32 v5, v2, s2, v4
	v_cmp_nlt_f32_e64 s[0:1], |v5|, s0
                                        ; implicit-def: $vgpr8
                                        ; implicit-def: $vgpr7
	s_and_saveexec_b64 s[2:3], s[0:1]
	s_xor_b64 s[18:19], exec, s[2:3]
	s_cbranch_execz .LBB1_4
; %bb.3:
	v_and_b32_e32 v13, 0x7fffffff, v5
	v_and_b32_e32 v2, 0x7fffff, v13
	v_or_b32_e32 v15, 0x800000, v2
	s_mov_b32 s0, 0xfe5163ab
	v_mad_u64_u32 v[2:3], s[0:1], v15, s0, 0
	v_mov_b32_e32 v8, 0
	s_mov_b32 s0, 0x3c439041
	v_mov_b32_e32 v7, v3
	v_mad_u64_u32 v[9:10], s[0:1], v15, s0, v[7:8]
	s_mov_b32 s0, 0xdb629599
	v_not_b32_e32 v3, 63
	v_mov_b32_e32 v7, v10
	v_mad_u64_u32 v[10:11], s[0:1], v15, s0, v[7:8]
	s_mov_b32 s0, 0xf534ddc0
	v_not_b32_e32 v16, 31
	v_mov_b32_e32 v7, v11
	v_mad_u64_u32 v[11:12], s[0:1], v15, s0, v[7:8]
	v_lshrrev_b32_e32 v7, 23, v13
	v_add_u32_e32 v14, 0xffffff88, v7
	v_mov_b32_e32 v7, v12
	s_mov_b32 s0, 0xfc2757d1
	v_mad_u64_u32 v[12:13], s[0:1], v15, s0, v[7:8]
	v_cmp_lt_u32_e32 vcc, 63, v14
	v_cndmask_b32_e32 v3, 0, v3, vcc
	v_mov_b32_e32 v7, v13
	s_mov_b32 s0, 0x4e441529
	v_add_u32_e32 v3, v3, v14
	v_mad_u64_u32 v[13:14], s[0:1], v15, s0, v[7:8]
	v_cmp_lt_u32_e64 s[0:1], 31, v3
	v_cndmask_b32_e64 v7, 0, v16, s[0:1]
	v_add_u32_e32 v3, v7, v3
	v_mov_b32_e32 v7, v14
	s_mov_b32 s2, 0xa2f9836e
	v_mad_u64_u32 v[7:8], s[2:3], v15, s2, v[7:8]
	v_cmp_lt_u32_e64 s[2:3], 31, v3
	v_cndmask_b32_e64 v14, 0, v16, s[2:3]
	v_add_u32_e32 v3, v14, v3
	v_cndmask_b32_e32 v14, v13, v11, vcc
	v_cndmask_b32_e32 v7, v7, v12, vcc
	;; [unrolled: 1-line block ×3, first 2 shown]
	v_cndmask_b32_e64 v15, v7, v14, s[0:1]
	v_cndmask_b32_e64 v7, v8, v7, s[0:1]
	v_cndmask_b32_e32 v8, v12, v10, vcc
	v_cndmask_b32_e64 v12, v14, v8, s[0:1]
	v_cndmask_b32_e64 v7, v7, v15, s[2:3]
	;; [unrolled: 1-line block ×3, first 2 shown]
	v_sub_u32_e32 v14, 32, v3
	v_alignbit_b32 v15, v7, v13, v14
	v_cmp_eq_u32_e64 s[6:7], 0, v3
	v_cndmask_b32_e64 v3, v15, v7, s[6:7]
	v_cndmask_b32_e32 v7, v11, v9, vcc
	v_cndmask_b32_e64 v8, v8, v7, s[0:1]
	v_cndmask_b32_e64 v9, v12, v8, s[2:3]
	v_alignbit_b32 v11, v13, v9, v14
	v_cndmask_b32_e32 v2, v10, v2, vcc
	v_cndmask_b32_e64 v11, v11, v13, s[6:7]
	v_bfe_u32 v15, v3, 29, 1
	v_cndmask_b32_e64 v2, v7, v2, s[0:1]
	v_alignbit_b32 v12, v3, v11, 30
	v_sub_u32_e32 v16, 0, v15
	v_cndmask_b32_e64 v2, v8, v2, s[2:3]
	v_xor_b32_e32 v12, v12, v16
	v_alignbit_b32 v7, v9, v2, v14
	v_cndmask_b32_e64 v7, v7, v9, s[6:7]
	v_ffbh_u32_e32 v9, v12
	v_alignbit_b32 v8, v11, v7, 30
	v_min_u32_e32 v9, 32, v9
	v_alignbit_b32 v2, v7, v2, 30
	v_xor_b32_e32 v8, v8, v16
	v_sub_u32_e32 v10, 31, v9
	v_xor_b32_e32 v2, v2, v16
	v_alignbit_b32 v11, v12, v8, v10
	v_alignbit_b32 v2, v8, v2, v10
	v_alignbit_b32 v7, v11, v2, 9
	v_ffbh_u32_e32 v8, v7
	v_min_u32_e32 v8, 32, v8
	v_lshrrev_b32_e32 v13, 29, v3
	v_not_b32_e32 v10, v8
	v_alignbit_b32 v2, v7, v2, v10
	v_lshlrev_b32_e32 v7, 31, v13
	v_or_b32_e32 v10, 0x33000000, v7
	v_add_lshl_u32 v8, v8, v9, 23
	v_lshrrev_b32_e32 v2, 9, v2
	v_sub_u32_e32 v8, v10, v8
	v_or_b32_e32 v7, 0.5, v7
	v_lshlrev_b32_e32 v9, 23, v9
	v_or_b32_e32 v2, v8, v2
	v_lshrrev_b32_e32 v8, 9, v11
	v_sub_u32_e32 v7, v7, v9
	v_or_b32_e32 v7, v8, v7
	s_mov_b32 s0, 0x3fc90fda
	v_mul_f32_e32 v8, 0x3fc90fda, v7
	v_fma_f32 v9, v7, s0, -v8
	v_fmac_f32_e32 v9, 0x33a22168, v7
	v_fmac_f32_e32 v9, 0x3fc90fda, v2
	v_lshrrev_b32_e32 v2, 30, v3
	v_add_f32_e32 v7, v8, v9
	v_add_u32_e32 v8, v15, v2
.LBB1_4:
	s_andn2_saveexec_b64 s[0:1], s[18:19]
	s_cbranch_execz .LBB1_6
; %bb.5:
	s_mov_b32 s2, 0x3f22f983
	v_mul_f32_e64 v2, |v5|, s2
	v_rndne_f32_e32 v2, v2
	s_mov_b32 s2, 0xbfc90fda
	v_cvt_i32_f32_e32 v8, v2
	v_fma_f32 v7, v2, s2, |v5|
	v_fmac_f32_e32 v7, 0xb3a22168, v2
	v_fmac_f32_e32 v7, 0xa7c234c4, v2
.LBB1_6:
	s_or_b64 exec, exec, s[0:1]
	v_mov_b32_e32 v3, s17
	v_add_co_u32_e32 v2, vcc, s16, v0
	v_addc_co_u32_e32 v3, vcc, v3, v1, vcc
	global_load_dword v9, v[2:3], off
	s_mov_b32 s2, 0x40400000
	v_add_f32_e32 v10, 0x40c90fdb, v4
	v_div_scale_f32 v2, s[0:1], s2, s2, v10
	v_mul_f32_e32 v12, v7, v7
	v_mov_b32_e32 v15, 0x3c0881c4
	v_mov_b32_e32 v17, 0xbe2aaa9d
	v_fmac_f32_e32 v15, 0xb94c1982, v12
	v_fmac_f32_e32 v17, v12, v15
	v_mul_f32_e32 v17, v12, v17
	v_fmac_f32_e32 v7, v7, v17
	v_mov_b32_e32 v15, 0x7fc00000
	v_rcp_f32_e32 v14, v2
	v_fma_f32 v18, -v2, v14, 1.0
	v_fmac_f32_e32 v14, v18, v14
	s_waitcnt vmcnt(0)
	v_div_scale_f32 v3, s[0:1], s2, s2, v9
	v_div_scale_f32 v11, vcc, v9, s2, v9
	v_div_scale_f32 v13, s[0:1], v10, s2, v10
	v_rcp_f32_e32 v16, v3
	v_fma_f32 v18, -v3, v16, 1.0
	v_fmac_f32_e32 v16, v18, v16
	v_mul_f32_e32 v18, v11, v16
	v_fma_f32 v19, -v3, v18, v11
	v_fmac_f32_e32 v18, v19, v16
	v_fma_f32 v3, -v3, v18, v11
	v_div_fmas_f32 v16, v3, v16, v18
	v_mul_f32_e32 v3, v13, v14
	v_fma_f32 v18, -v2, v3, v13
	v_fmac_f32_e32 v3, v18, v14
	v_fma_f32 v2, -v2, v3, v13
	s_mov_b64 vcc, s[0:1]
	v_div_fmas_f32 v14, v2, v14, v3
	v_mov_b32_e32 v19, 0xbab64f3b
	v_mov_b32_e32 v11, 0x3d2aabf7
	v_fmac_f32_e32 v19, 0x37d75334, v12
	v_mov_b32_e32 v18, 0xbf000004
	v_mov_b32_e32 v13, s21
	v_add_co_u32_e32 v2, vcc, s20, v0
	v_fmac_f32_e32 v11, v12, v19
	v_addc_co_u32_e32 v3, vcc, v13, v1, vcc
	v_and_b32_e32 v13, 1, v8
	v_fmac_f32_e32 v18, v12, v11
	v_lshlrev_b32_e32 v8, 30, v8
	v_fma_f32 v11, v12, v18, 1.0
	v_cmp_eq_u32_e32 vcc, 0, v13
	s_movk_i32 s0, 0x1f8
	v_and_b32_e32 v8, 0x80000000, v8
	v_cndmask_b32_e64 v7, -v7, v11, vcc
	v_xor_b32_e32 v7, v8, v7
	v_cmp_class_f32_e64 vcc, v5, s0
	v_cndmask_b32_e32 v5, v15, v7, vcc
	v_div_fixup_f32 v7, v16, s2, v9
	s_brev_b32 s1, 18
	v_fma_f32 v8, v6, v5, -v7
	v_div_fixup_f32 v5, v14, s2, v10
	v_cmp_nlt_f32_e64 s[0:1], |v5|, s1
	global_store_dword v[2:3], v8, off
                                        ; implicit-def: $vgpr9
                                        ; implicit-def: $vgpr10
	s_and_saveexec_b64 s[2:3], s[0:1]
	s_xor_b64 s[18:19], exec, s[2:3]
	s_cbranch_execz .LBB1_8
; %bb.7:
	v_and_b32_e32 v16, 0x7fffffff, v5
	v_and_b32_e32 v9, 0x7fffff, v16
	v_or_b32_e32 v18, 0x800000, v9
	s_mov_b32 s0, 0xfe5163ab
	v_mad_u64_u32 v[9:10], s[0:1], v18, s0, 0
	v_mov_b32_e32 v11, 0
	s_mov_b32 s0, 0x3c439041
	v_mad_u64_u32 v[12:13], s[0:1], v18, s0, v[10:11]
	s_mov_b32 s0, 0xdb629599
	v_not_b32_e32 v17, 63
	v_mov_b32_e32 v10, v13
	v_mad_u64_u32 v[13:14], s[0:1], v18, s0, v[10:11]
	s_mov_b32 s0, 0xf534ddc0
	v_not_b32_e32 v20, 31
	v_mov_b32_e32 v10, v14
	v_mad_u64_u32 v[14:15], s[0:1], v18, s0, v[10:11]
	v_lshrrev_b32_e32 v10, 23, v16
	v_add_u32_e32 v19, 0xffffff88, v10
	v_mov_b32_e32 v10, v15
	s_mov_b32 s0, 0xfc2757d1
	v_mad_u64_u32 v[15:16], s[0:1], v18, s0, v[10:11]
	v_cmp_lt_u32_e32 vcc, 63, v19
	v_cndmask_b32_e32 v10, 0, v17, vcc
	v_add_u32_e32 v19, v10, v19
	v_mov_b32_e32 v10, v16
	s_mov_b32 s0, 0x4e441529
	v_mad_u64_u32 v[16:17], s[0:1], v18, s0, v[10:11]
	v_cmp_lt_u32_e64 s[0:1], 31, v19
	v_cndmask_b32_e64 v10, 0, v20, s[0:1]
	v_add_u32_e32 v19, v10, v19
	v_mov_b32_e32 v10, v17
	s_mov_b32 s2, 0xa2f9836e
	v_mad_u64_u32 v[10:11], s[2:3], v18, s2, v[10:11]
	v_cmp_lt_u32_e64 s[2:3], 31, v19
	v_cndmask_b32_e64 v17, 0, v20, s[2:3]
	v_cndmask_b32_e32 v18, v16, v14, vcc
	v_cndmask_b32_e32 v10, v10, v15, vcc
	;; [unrolled: 1-line block ×3, first 2 shown]
	v_add_u32_e32 v17, v17, v19
	v_cndmask_b32_e64 v19, v10, v18, s[0:1]
	v_cndmask_b32_e64 v10, v11, v10, s[0:1]
	v_cndmask_b32_e32 v11, v15, v13, vcc
	v_cndmask_b32_e64 v15, v18, v11, s[0:1]
	v_cndmask_b32_e64 v10, v10, v19, s[2:3]
	;; [unrolled: 1-line block ×3, first 2 shown]
	v_sub_u32_e32 v18, 32, v17
	v_alignbit_b32 v19, v10, v16, v18
	v_cmp_eq_u32_e64 s[6:7], 0, v17
	v_cndmask_b32_e64 v17, v19, v10, s[6:7]
	v_cndmask_b32_e32 v10, v14, v12, vcc
	v_cndmask_b32_e64 v11, v11, v10, s[0:1]
	v_cndmask_b32_e64 v12, v15, v11, s[2:3]
	v_alignbit_b32 v14, v16, v12, v18
	v_cndmask_b32_e32 v9, v13, v9, vcc
	v_cndmask_b32_e64 v14, v14, v16, s[6:7]
	v_bfe_u32 v19, v17, 29, 1
	v_cndmask_b32_e64 v9, v10, v9, s[0:1]
	v_alignbit_b32 v15, v17, v14, 30
	v_sub_u32_e32 v20, 0, v19
	v_cndmask_b32_e64 v9, v11, v9, s[2:3]
	v_xor_b32_e32 v15, v15, v20
	v_alignbit_b32 v10, v12, v9, v18
	v_cndmask_b32_e64 v10, v10, v12, s[6:7]
	v_ffbh_u32_e32 v12, v15
	v_alignbit_b32 v11, v14, v10, 30
	v_min_u32_e32 v12, 32, v12
	v_alignbit_b32 v9, v10, v9, 30
	v_xor_b32_e32 v11, v11, v20
	v_sub_u32_e32 v13, 31, v12
	v_xor_b32_e32 v9, v9, v20
	v_alignbit_b32 v14, v15, v11, v13
	v_alignbit_b32 v9, v11, v9, v13
	;; [unrolled: 1-line block ×3, first 2 shown]
	v_ffbh_u32_e32 v11, v10
	v_min_u32_e32 v11, 32, v11
	v_lshrrev_b32_e32 v16, 29, v17
	v_not_b32_e32 v13, v11
	v_alignbit_b32 v9, v10, v9, v13
	v_lshlrev_b32_e32 v10, 31, v16
	v_or_b32_e32 v13, 0x33000000, v10
	v_add_lshl_u32 v11, v11, v12, 23
	v_lshrrev_b32_e32 v9, 9, v9
	v_sub_u32_e32 v11, v13, v11
	v_or_b32_e32 v10, 0.5, v10
	v_lshlrev_b32_e32 v12, 23, v12
	v_or_b32_e32 v9, v11, v9
	v_lshrrev_b32_e32 v11, 9, v14
	v_sub_u32_e32 v10, v10, v12
	v_or_b32_e32 v10, v11, v10
	s_mov_b32 s0, 0x3fc90fda
	v_mul_f32_e32 v11, 0x3fc90fda, v10
	v_fma_f32 v12, v10, s0, -v11
	v_fmac_f32_e32 v12, 0x33a22168, v10
	v_fmac_f32_e32 v12, 0x3fc90fda, v9
	v_lshrrev_b32_e32 v9, 30, v17
	v_add_f32_e32 v10, v11, v12
	v_add_u32_e32 v9, v19, v9
.LBB1_8:
	s_andn2_saveexec_b64 s[0:1], s[18:19]
	s_cbranch_execz .LBB1_10
; %bb.9:
	s_mov_b32 s2, 0x3f22f983
	v_mul_f32_e64 v9, |v5|, s2
	v_rndne_f32_e32 v11, v9
	s_mov_b32 s2, 0xbfc90fda
	v_cvt_i32_f32_e32 v9, v11
	v_fma_f32 v10, v11, s2, |v5|
	v_fmac_f32_e32 v10, 0xb3a22168, v11
	v_fmac_f32_e32 v10, 0xa7c234c4, v11
.LBB1_10:
	s_or_b64 exec, exec, s[0:1]
	v_add_f32_e32 v11, 0x41490fdb, v4
	s_mov_b32 s2, 0x40400000
	v_div_scale_f32 v4, s[0:1], s2, s2, v11
	v_div_scale_f32 v14, vcc, v11, s2, v11
	v_mul_f32_e32 v12, v10, v10
	v_mov_b32_e32 v13, 0x3c0881c4
	v_fmac_f32_e32 v13, 0xb94c1982, v12
	v_mov_b32_e32 v15, 0xbe2aaa9d
	v_fmac_f32_e32 v15, v12, v13
	v_mul_f32_e32 v13, v12, v15
	v_fmac_f32_e32 v10, v10, v13
	v_mov_b32_e32 v13, 0xbab64f3b
	v_fmac_f32_e32 v13, 0x37d75334, v12
	v_mov_b32_e32 v15, 0x3d2aabf7
	;; [unrolled: 2-line block ×3, first 2 shown]
	v_rcp_f32_e32 v16, v4
	v_fmac_f32_e32 v13, v12, v15
	v_fma_f32 v12, v12, v13, 1.0
	v_and_b32_e32 v13, 1, v9
	v_fma_f32 v15, -v4, v16, 1.0
	v_fmac_f32_e32 v16, v15, v16
	v_mul_f32_e32 v15, v14, v16
	v_fma_f32 v17, -v4, v15, v14
	v_fmac_f32_e32 v15, v17, v16
	v_fma_f32 v4, -v4, v15, v14
	v_div_fmas_f32 v14, v4, v16, v15
	v_cmp_eq_u32_e32 vcc, 0, v13
	v_lshlrev_b32_e32 v9, 30, v9
	v_cndmask_b32_e64 v4, -v10, v12, vcc
	v_and_b32_e32 v9, 0x80000000, v9
	s_movk_i32 s0, 0x1f8
	v_xor_b32_e32 v4, v9, v4
	v_mov_b32_e32 v9, 0x7fc00000
	v_cmp_class_f32_e64 vcc, v5, s0
	v_cndmask_b32_e32 v4, v9, v4, vcc
	v_fma_f32 v9, v6, v4, -v7
	v_mov_b32_e32 v5, s23
	v_add_co_u32_e32 v4, vcc, s22, v0
	s_brev_b32 s0, 18
	v_addc_co_u32_e32 v5, vcc, v5, v1, vcc
	v_div_fixup_f32 v10, v14, s2, v11
	v_cmp_nlt_f32_e64 s[0:1], |v10|, s0
	global_store_dword v[4:5], v9, off
                                        ; implicit-def: $vgpr11
                                        ; implicit-def: $vgpr12
	s_and_saveexec_b64 s[2:3], s[0:1]
	s_xor_b64 s[18:19], exec, s[2:3]
	s_cbranch_execz .LBB1_12
; %bb.11:
	v_and_b32_e32 v18, 0x7fffffff, v10
	v_and_b32_e32 v11, 0x7fffff, v18
	v_or_b32_e32 v20, 0x800000, v11
	s_mov_b32 s0, 0xfe5163ab
	v_mad_u64_u32 v[11:12], s[0:1], v20, s0, 0
	v_mov_b32_e32 v13, 0
	s_mov_b32 s0, 0x3c439041
	v_mad_u64_u32 v[14:15], s[0:1], v20, s0, v[12:13]
	s_mov_b32 s0, 0xdb629599
	v_not_b32_e32 v19, 63
	v_mov_b32_e32 v12, v15
	v_mad_u64_u32 v[15:16], s[0:1], v20, s0, v[12:13]
	s_mov_b32 s0, 0xf534ddc0
	v_not_b32_e32 v22, 31
	v_mov_b32_e32 v12, v16
	v_mad_u64_u32 v[16:17], s[0:1], v20, s0, v[12:13]
	v_lshrrev_b32_e32 v12, 23, v18
	v_add_u32_e32 v21, 0xffffff88, v12
	v_mov_b32_e32 v12, v17
	s_mov_b32 s0, 0xfc2757d1
	v_mad_u64_u32 v[17:18], s[0:1], v20, s0, v[12:13]
	v_cmp_lt_u32_e32 vcc, 63, v21
	v_cndmask_b32_e32 v12, 0, v19, vcc
	v_add_u32_e32 v21, v12, v21
	v_mov_b32_e32 v12, v18
	s_mov_b32 s0, 0x4e441529
	v_mad_u64_u32 v[18:19], s[0:1], v20, s0, v[12:13]
	v_cmp_lt_u32_e64 s[0:1], 31, v21
	v_cndmask_b32_e64 v12, 0, v22, s[0:1]
	v_add_u32_e32 v21, v12, v21
	v_mov_b32_e32 v12, v19
	s_mov_b32 s2, 0xa2f9836e
	v_mad_u64_u32 v[12:13], s[2:3], v20, s2, v[12:13]
	v_cmp_lt_u32_e64 s[2:3], 31, v21
	v_cndmask_b32_e64 v19, 0, v22, s[2:3]
	v_cndmask_b32_e32 v20, v18, v16, vcc
	v_cndmask_b32_e32 v12, v12, v17, vcc
	;; [unrolled: 1-line block ×3, first 2 shown]
	v_add_u32_e32 v19, v19, v21
	v_cndmask_b32_e64 v21, v12, v20, s[0:1]
	v_cndmask_b32_e64 v12, v13, v12, s[0:1]
	v_cndmask_b32_e32 v13, v17, v15, vcc
	v_cndmask_b32_e64 v17, v20, v13, s[0:1]
	v_cndmask_b32_e64 v12, v12, v21, s[2:3]
	;; [unrolled: 1-line block ×3, first 2 shown]
	v_sub_u32_e32 v20, 32, v19
	v_alignbit_b32 v21, v12, v18, v20
	v_cmp_eq_u32_e64 s[6:7], 0, v19
	v_cndmask_b32_e64 v19, v21, v12, s[6:7]
	v_cndmask_b32_e32 v12, v16, v14, vcc
	v_cndmask_b32_e64 v13, v13, v12, s[0:1]
	v_cndmask_b32_e64 v14, v17, v13, s[2:3]
	v_alignbit_b32 v16, v18, v14, v20
	v_cndmask_b32_e32 v11, v15, v11, vcc
	v_cndmask_b32_e64 v16, v16, v18, s[6:7]
	v_bfe_u32 v21, v19, 29, 1
	v_cndmask_b32_e64 v11, v12, v11, s[0:1]
	v_alignbit_b32 v17, v19, v16, 30
	v_sub_u32_e32 v22, 0, v21
	v_cndmask_b32_e64 v11, v13, v11, s[2:3]
	v_xor_b32_e32 v17, v17, v22
	v_alignbit_b32 v12, v14, v11, v20
	v_cndmask_b32_e64 v12, v12, v14, s[6:7]
	v_ffbh_u32_e32 v14, v17
	v_alignbit_b32 v13, v16, v12, 30
	v_min_u32_e32 v14, 32, v14
	v_alignbit_b32 v11, v12, v11, 30
	v_xor_b32_e32 v13, v13, v22
	v_sub_u32_e32 v15, 31, v14
	v_xor_b32_e32 v11, v11, v22
	v_alignbit_b32 v16, v17, v13, v15
	v_alignbit_b32 v11, v13, v11, v15
	;; [unrolled: 1-line block ×3, first 2 shown]
	v_ffbh_u32_e32 v13, v12
	v_min_u32_e32 v13, 32, v13
	v_lshrrev_b32_e32 v18, 29, v19
	v_not_b32_e32 v15, v13
	v_alignbit_b32 v11, v12, v11, v15
	v_lshlrev_b32_e32 v12, 31, v18
	v_or_b32_e32 v15, 0x33000000, v12
	v_add_lshl_u32 v13, v13, v14, 23
	v_lshrrev_b32_e32 v11, 9, v11
	v_sub_u32_e32 v13, v15, v13
	v_or_b32_e32 v12, 0.5, v12
	v_lshlrev_b32_e32 v14, 23, v14
	v_or_b32_e32 v11, v13, v11
	v_lshrrev_b32_e32 v13, 9, v16
	v_sub_u32_e32 v12, v12, v14
	v_or_b32_e32 v12, v13, v12
	s_mov_b32 s0, 0x3fc90fda
	v_mul_f32_e32 v13, 0x3fc90fda, v12
	v_fma_f32 v14, v12, s0, -v13
	v_fmac_f32_e32 v14, 0x33a22168, v12
	v_fmac_f32_e32 v14, 0x3fc90fda, v11
	v_lshrrev_b32_e32 v11, 30, v19
	v_add_f32_e32 v12, v13, v14
	v_add_u32_e32 v11, v21, v11
.LBB1_12:
	s_andn2_saveexec_b64 s[0:1], s[18:19]
	s_cbranch_execz .LBB1_14
; %bb.13:
	s_mov_b32 s2, 0x3f22f983
	v_mul_f32_e64 v11, |v10|, s2
	v_rndne_f32_e32 v13, v11
	s_mov_b32 s2, 0xbfc90fda
	v_cvt_i32_f32_e32 v11, v13
	v_fma_f32 v12, v13, s2, |v10|
	v_fmac_f32_e32 v12, 0xb3a22168, v13
	v_fmac_f32_e32 v12, 0xa7c234c4, v13
.LBB1_14:
	s_or_b64 exec, exec, s[0:1]
	v_mul_f32_e32 v13, v12, v12
	v_mov_b32_e32 v14, 0x3c0881c4
	v_fmac_f32_e32 v14, 0xb94c1982, v13
	v_mov_b32_e32 v15, 0xbe2aaa9d
	v_fmac_f32_e32 v15, v13, v14
	v_mul_f32_e32 v14, v13, v15
	v_fmac_f32_e32 v12, v12, v14
	v_mov_b32_e32 v14, 0xbab64f3b
	v_fmac_f32_e32 v14, 0x37d75334, v13
	v_mov_b32_e32 v15, 0x3d2aabf7
	;; [unrolled: 2-line block ×3, first 2 shown]
	v_fmac_f32_e32 v14, v13, v15
	v_fma_f32 v13, v13, v14, 1.0
	v_and_b32_e32 v14, 1, v11
	v_cmp_eq_u32_e32 vcc, 0, v14
	v_lshlrev_b32_e32 v11, 30, v11
	v_cndmask_b32_e64 v12, -v12, v13, vcc
	v_and_b32_e32 v11, 0x80000000, v11
	s_movk_i32 s2, 0x1f8
	s_load_dwordx2 s[0:1], s[4:5], 0x70
	v_xor_b32_e32 v11, v11, v12
	v_mov_b32_e32 v12, 0x7fc00000
	v_cmp_class_f32_e64 vcc, v10, s2
	v_cndmask_b32_e32 v10, v12, v11, vcc
	v_fma_f32 v10, v6, v10, -v7
	v_mov_b32_e32 v7, s31
	v_add_co_u32_e32 v6, vcc, s30, v0
	v_addc_co_u32_e32 v7, vcc, v7, v1, vcc
	v_cmp_nlt_f32_e32 vcc, v8, v9
	global_store_dword v[6:7], v10, off
	s_and_saveexec_b64 s[2:3], vcc
	s_xor_b64 s[2:3], exec, s[2:3]
	s_cbranch_execz .LBB1_16
; %bb.15:
	global_load_dword v8, v[4:5], off
                                        ; implicit-def: $vgpr9
.LBB1_16:
	s_andn2_saveexec_b64 s[2:3], s[2:3]
	s_cbranch_execz .LBB1_18
; %bb.17:
	s_waitcnt lgkmcnt(0)
	v_mov_b32_e32 v12, s1
	v_add_co_u32_e32 v11, vcc, s0, v0
	v_addc_co_u32_e32 v12, vcc, v12, v1, vcc
	s_waitcnt vmcnt(0)
	global_store_dword v[11:12], v8, off
	global_store_dword v[2:3], v9, off
	;; [unrolled: 1-line block ×3, first 2 shown]
.LBB1_18:
	s_or_b64 exec, exec, s[2:3]
	s_waitcnt vmcnt(0)
	v_cmp_lt_f32_e32 vcc, v8, v10
	v_mov_b32_e32 v9, v10
	s_and_saveexec_b64 s[2:3], vcc
	s_cbranch_execz .LBB1_20
; %bb.19:
	s_waitcnt lgkmcnt(0)
	v_mov_b32_e32 v9, s1
	v_add_co_u32_e32 v11, vcc, s0, v0
	v_addc_co_u32_e32 v12, vcc, v9, v1, vcc
	global_store_dword v[11:12], v8, off
	global_store_dword v[4:5], v10, off
	;; [unrolled: 1-line block ×3, first 2 shown]
	v_mov_b32_e32 v9, v8
	v_mov_b32_e32 v8, v10
.LBB1_20:
	s_or_b64 exec, exec, s[2:3]
	global_load_dword v6, v[2:3], off
	s_waitcnt vmcnt(0)
	v_cmp_lt_f32_e32 vcc, v6, v8
	s_and_saveexec_b64 s[2:3], vcc
	s_cbranch_execz .LBB1_22
; %bb.21:
	s_waitcnt lgkmcnt(0)
	v_mov_b32_e32 v7, s1
	v_add_co_u32_e32 v10, vcc, s0, v0
	v_addc_co_u32_e32 v11, vcc, v7, v1, vcc
	global_store_dword v[10:11], v6, off
	global_store_dword v[2:3], v8, off
	;; [unrolled: 1-line block ×3, first 2 shown]
	v_mov_b32_e32 v6, v8
.LBB1_22:
	s_or_b64 exec, exec, s[2:3]
	v_mov_b32_e32 v3, s11
	v_add_co_u32_e32 v2, vcc, s10, v0
	v_addc_co_u32_e32 v3, vcc, v3, v1, vcc
	global_load_dword v7, v[2:3], off
	v_mov_b32_e32 v3, s9
	v_add_co_u32_e32 v2, vcc, s8, v0
	v_addc_co_u32_e32 v3, vcc, v3, v1, vcc
	v_mov_b32_e32 v5, s13
	v_add_co_u32_e32 v4, vcc, s12, v0
	v_addc_co_u32_e32 v5, vcc, v5, v1, vcc
	v_mov_b32_e32 v8, s15
	global_load_dword v10, v[2:3], off
	global_load_dword v11, v[4:5], off
	v_add_co_u32_e32 v2, vcc, s14, v0
	v_addc_co_u32_e32 v3, vcc, v8, v1, vcc
	global_load_dword v2, v[2:3], off
	v_mul_f32_e32 v4, v9, v9
	v_mul_f32_e32 v3, v6, v6
	;; [unrolled: 1-line block ×3, first 2 shown]
	v_fma_f32 v8, v6, v3, -v5
	s_mov_b32 s2, 0x40400000
	v_mul_f32_e32 v3, v6, v3
	v_mul_f32_e32 v5, v9, v5
	v_fma_f32 v3, v6, v3, -v5
	v_fma_f32 v4, v6, v6, -v4
	s_waitcnt vmcnt(3)
	v_mul_f32_e32 v7, v7, v8
	s_waitcnt lgkmcnt(0)
	v_div_scale_f32 v8, s[0:1], s2, s2, v7
	v_div_scale_f32 v12, vcc, v7, s2, v7
	s_waitcnt vmcnt(2)
	v_mul_f32_e32 v3, v10, v3
	s_waitcnt vmcnt(1)
	v_mul_f32_e32 v4, v11, v4
	v_rcp_f32_e32 v13, v8
	v_fma_f32 v14, -v8, v13, 1.0
	v_fmac_f32_e32 v13, v14, v13
	v_mul_f32_e32 v14, v12, v13
	v_fma_f32 v15, -v8, v14, v12
	v_fmac_f32_e32 v14, v15, v13
	v_fma_f32 v8, -v8, v14, v12
	v_div_fmas_f32 v8, v8, v13, v14
	v_sub_f32_e32 v12, v6, v9
	v_div_fixup_f32 v5, v8, s2, v7
	v_fmac_f32_e32 v5, 0x3e800000, v3
	v_fmac_f32_e32 v5, 0.5, v4
	s_waitcnt vmcnt(0)
	v_fmac_f32_e32 v5, v12, v2
	v_cmp_nge_f32_e32 vcc, 0, v5
	v_cndmask_b32_e32 v4, v6, v9, vcc
                                        ; implicit-def: $vgpr3
                                        ; implicit-def: $vgpr2
.LBB1_23:
	s_andn2_saveexec_b64 s[4:5], s[34:35]
	s_cbranch_execz .LBB1_25
; %bb.24:
	v_mov_b32_e32 v5, s17
	v_add_co_u32_e32 v4, vcc, s16, v0
	v_addc_co_u32_e32 v5, vcc, v5, v1, vcc
	global_load_dword v9, v[4:5], off
	s_mov_b32 s0, 0xf800000
	v_mul_f32_e32 v4, 0x4f800000, v3
	v_cmp_gt_f32_e32 vcc, s0, v3
	v_cndmask_b32_e32 v13, v3, v4, vcc
	s_waitcnt lgkmcnt(0)
	v_mov_b32_e32 v6, s21
	v_add_co_u32_e64 v5, s[0:1], s20, v0
	v_sqrt_f32_e32 v14, v13
	v_addc_co_u32_e64 v6, s[0:1], v6, v1, s[0:1]
	v_mov_b32_e32 v7, s23
	v_add_co_u32_e64 v3, s[0:1], s22, v0
	v_addc_co_u32_e64 v4, s[0:1], v7, v1, s[0:1]
	v_mov_b32_e32 v8, s31
	v_add_co_u32_e64 v7, s[0:1], s30, v0
	v_add_u32_e32 v15, -1, v14
	v_addc_co_u32_e64 v8, s[0:1], v8, v1, s[0:1]
	v_add_u32_e32 v16, 1, v14
	v_fma_f32 v17, -v15, v14, v13
	v_fma_f32 v18, -v16, v14, v13
	v_cmp_ge_f32_e64 s[0:1], 0, v17
	v_cndmask_b32_e64 v14, v14, v15, s[0:1]
	v_cmp_lt_f32_e64 s[0:1], 0, v18
	v_cndmask_b32_e64 v14, v14, v16, s[0:1]
	s_mov_b32 s7, 0xc0400000
	v_mul_f32_e32 v15, 0x37800000, v14
	v_cndmask_b32_e32 v14, v14, v15, vcc
	v_mov_b32_e32 v10, 0x260
	v_cmp_class_f32_e32 vcc, v13, v10
	v_cndmask_b32_e32 v10, v14, v13, vcc
	s_mov_b32 s2, 0x800000
	s_waitcnt vmcnt(1)
	v_add_f32_e32 v13, v10, v2
	v_sub_f32_e32 v2, v2, v10
	v_ldexp_f32 v10, |v13|, 24
	v_ldexp_f32 v16, |v2|, 24
	v_mov_b32_e32 v12, 0
	global_store_dword v[3:4], v12, off
	v_mov_b32_e32 v11, 0x198
	s_brev_b32 s6, -2
	s_waitcnt vmcnt(1)
	v_div_scale_f32 v15, s[0:1], s7, s7, v9
	v_div_scale_f32 v14, vcc, v9, s7, v9
	v_cmp_lt_f32_e64 s[0:1], |v13|, s2
	v_cmp_lt_f32_e64 s[2:3], |v2|, s2
	v_cndmask_b32_e64 v10, |v13|, v10, s[0:1]
	v_cndmask_b32_e64 v16, |v2|, v16, s[2:3]
	v_log_f32_e32 v17, v10
	v_log_f32_e32 v18, v16
	v_mul_f32_e32 v3, 0x3eaaaaab, v17
	v_mul_f32_e32 v17, 0x3eaaaaab, v18
	v_exp_f32_e32 v3, v3
	v_exp_f32_e32 v17, v17
	v_rcp_f32_e32 v4, v15
	v_fma_f32 v18, -v15, v4, 1.0
	v_fmac_f32_e32 v4, v18, v4
	v_mul_f32_e32 v18, v14, v4
	v_fma_f32 v19, -v15, v18, v14
	v_fmac_f32_e32 v18, v19, v4
	v_fma_f32 v14, -v15, v18, v14
	v_div_fmas_f32 v4, v14, v4, v18
	v_mul_f32_e32 v19, v3, v3
	v_mul_f32_e32 v15, v17, v17
	v_rcp_f32_e32 v19, v19
	v_rcp_f32_e32 v15, v15
	v_cmp_class_f32_e32 vcc, v13, v11
	v_fma_f32 v10, v19, -v10, v3
	v_fma_f32 v14, v15, -v16, v17
	v_fmac_f32_e32 v3, 0xbeaaaaab, v10
	v_fmac_f32_e32 v17, 0xbeaaaaab, v14
	v_ldexp_f32 v10, v3, -8
	v_ldexp_f32 v14, v17, -8
	v_cndmask_b32_e64 v3, v3, v10, s[0:1]
	v_cndmask_b32_e64 v10, v17, v14, s[2:3]
	v_bfi_b32 v3, s6, v3, v13
	v_bfi_b32 v10, s6, v10, v2
	v_cndmask_b32_e32 v3, v13, v3, vcc
	v_cmp_class_f32_e32 vcc, v2, v11
	v_cndmask_b32_e32 v2, v2, v10, vcc
	v_add_f32_e32 v2, v3, v2
	v_div_fixup_f32 v3, v4, s7, v9
	v_add_f32_e32 v4, v2, v3
	global_store_dword v[5:6], v4, off
	global_store_dword v[7:8], v12, off
.LBB1_25:
	s_or_b64 exec, exec, s[4:5]
	s_waitcnt vmcnt(0) lgkmcnt(0)
	v_mov_b32_e32 v2, s29
	v_add_co_u32_e32 v0, vcc, s28, v0
	v_addc_co_u32_e32 v1, vcc, v2, v1, vcc
	global_store_dword v[0:1], v4, off
.LBB1_26:
	s_endpgm
	.section	.rodata,"a",@progbits
	.p2align	6, 0x0
	.amdhsa_kernel _Z13QuarticSolveriPKfS0_S0_S0_S0_S0_S0_S0_PfS1_S1_S1_S1_S1_S1_
		.amdhsa_group_segment_fixed_size 0
		.amdhsa_private_segment_fixed_size 0
		.amdhsa_kernarg_size 384
		.amdhsa_user_sgpr_count 6
		.amdhsa_user_sgpr_private_segment_buffer 1
		.amdhsa_user_sgpr_dispatch_ptr 0
		.amdhsa_user_sgpr_queue_ptr 0
		.amdhsa_user_sgpr_kernarg_segment_ptr 1
		.amdhsa_user_sgpr_dispatch_id 0
		.amdhsa_user_sgpr_flat_scratch_init 0
		.amdhsa_user_sgpr_private_segment_size 0
		.amdhsa_uses_dynamic_stack 0
		.amdhsa_system_sgpr_private_segment_wavefront_offset 0
		.amdhsa_system_sgpr_workgroup_id_x 1
		.amdhsa_system_sgpr_workgroup_id_y 0
		.amdhsa_system_sgpr_workgroup_id_z 0
		.amdhsa_system_sgpr_workgroup_info 0
		.amdhsa_system_vgpr_workitem_id 0
		.amdhsa_next_free_vgpr 23
		.amdhsa_next_free_sgpr 36
		.amdhsa_reserve_vcc 1
		.amdhsa_reserve_flat_scratch 0
		.amdhsa_float_round_mode_32 0
		.amdhsa_float_round_mode_16_64 0
		.amdhsa_float_denorm_mode_32 3
		.amdhsa_float_denorm_mode_16_64 3
		.amdhsa_dx10_clamp 1
		.amdhsa_ieee_mode 1
		.amdhsa_fp16_overflow 0
		.amdhsa_exception_fp_ieee_invalid_op 0
		.amdhsa_exception_fp_denorm_src 0
		.amdhsa_exception_fp_ieee_div_zero 0
		.amdhsa_exception_fp_ieee_overflow 0
		.amdhsa_exception_fp_ieee_underflow 0
		.amdhsa_exception_fp_ieee_inexact 0
		.amdhsa_exception_int_div_zero 0
	.end_amdhsa_kernel
	.text
.Lfunc_end1:
	.size	_Z13QuarticSolveriPKfS0_S0_S0_S0_S0_S0_S0_PfS1_S1_S1_S1_S1_S1_, .Lfunc_end1-_Z13QuarticSolveriPKfS0_S0_S0_S0_S0_S0_S0_PfS1_S1_S1_S1_S1_S1_
                                        ; -- End function
	.set _Z13QuarticSolveriPKfS0_S0_S0_S0_S0_S0_S0_PfS1_S1_S1_S1_S1_S1_.num_vgpr, 23
	.set _Z13QuarticSolveriPKfS0_S0_S0_S0_S0_S0_S0_PfS1_S1_S1_S1_S1_S1_.num_agpr, 0
	.set _Z13QuarticSolveriPKfS0_S0_S0_S0_S0_S0_S0_PfS1_S1_S1_S1_S1_S1_.numbered_sgpr, 36
	.set _Z13QuarticSolveriPKfS0_S0_S0_S0_S0_S0_S0_PfS1_S1_S1_S1_S1_S1_.num_named_barrier, 0
	.set _Z13QuarticSolveriPKfS0_S0_S0_S0_S0_S0_S0_PfS1_S1_S1_S1_S1_S1_.private_seg_size, 0
	.set _Z13QuarticSolveriPKfS0_S0_S0_S0_S0_S0_S0_PfS1_S1_S1_S1_S1_S1_.uses_vcc, 1
	.set _Z13QuarticSolveriPKfS0_S0_S0_S0_S0_S0_S0_PfS1_S1_S1_S1_S1_S1_.uses_flat_scratch, 0
	.set _Z13QuarticSolveriPKfS0_S0_S0_S0_S0_S0_S0_PfS1_S1_S1_S1_S1_S1_.has_dyn_sized_stack, 0
	.set _Z13QuarticSolveriPKfS0_S0_S0_S0_S0_S0_S0_PfS1_S1_S1_S1_S1_S1_.has_recursion, 0
	.set _Z13QuarticSolveriPKfS0_S0_S0_S0_S0_S0_S0_PfS1_S1_S1_S1_S1_S1_.has_indirect_call, 0
	.section	.AMDGPU.csdata,"",@progbits
; Kernel info:
; codeLenInByte = 4736
; TotalNumSgprs: 40
; NumVgprs: 23
; ScratchSize: 0
; MemoryBound: 0
; FloatMode: 240
; IeeeMode: 1
; LDSByteSize: 0 bytes/workgroup (compile time only)
; SGPRBlocks: 4
; VGPRBlocks: 5
; NumSGPRsForWavesPerEU: 40
; NumVGPRsForWavesPerEU: 23
; Occupancy: 10
; WaveLimiterHint : 0
; COMPUTE_PGM_RSRC2:SCRATCH_EN: 0
; COMPUTE_PGM_RSRC2:USER_SGPR: 6
; COMPUTE_PGM_RSRC2:TRAP_HANDLER: 0
; COMPUTE_PGM_RSRC2:TGID_X_EN: 1
; COMPUTE_PGM_RSRC2:TGID_Y_EN: 0
; COMPUTE_PGM_RSRC2:TGID_Z_EN: 0
; COMPUTE_PGM_RSRC2:TIDIG_COMP_CNT: 0
	.section	.AMDGPU.gpr_maximums,"",@progbits
	.set amdgpu.max_num_vgpr, 0
	.set amdgpu.max_num_agpr, 0
	.set amdgpu.max_num_sgpr, 0
	.section	.AMDGPU.csdata,"",@progbits
	.type	__hip_cuid_8ec4de4c2fffec2,@object ; @__hip_cuid_8ec4de4c2fffec2
	.section	.bss,"aw",@nobits
	.globl	__hip_cuid_8ec4de4c2fffec2
__hip_cuid_8ec4de4c2fffec2:
	.byte	0                               ; 0x0
	.size	__hip_cuid_8ec4de4c2fffec2, 1

	.ident	"AMD clang version 22.0.0git (https://github.com/RadeonOpenCompute/llvm-project roc-7.2.4 26084 f58b06dce1f9c15707c5f808fd002e18c2accf7e)"
	.section	".note.GNU-stack","",@progbits
	.addrsig
	.addrsig_sym __hip_cuid_8ec4de4c2fffec2
	.amdgpu_metadata
---
amdhsa.kernels:
  - .args:
      - .offset:         0
        .size:           4
        .value_kind:     by_value
      - .address_space:  global
        .offset:         8
        .size:           8
        .value_kind:     global_buffer
      - .address_space:  global
        .offset:         16
        .size:           8
        .value_kind:     global_buffer
      - .address_space:  global
        .offset:         24
        .size:           8
        .value_kind:     global_buffer
      - .address_space:  global
        .offset:         32
        .size:           8
        .value_kind:     global_buffer
      - .actual_access:  write_only
        .address_space:  global
        .offset:         40
        .size:           8
        .value_kind:     global_buffer
      - .actual_access:  write_only
        .address_space:  global
        .offset:         48
        .size:           8
        .value_kind:     global_buffer
      - .actual_access:  write_only
        .address_space:  global
        .offset:         56
        .size:           8
        .value_kind:     global_buffer
      - .actual_access:  write_only
        .address_space:  global
        .offset:         64
        .size:           8
        .value_kind:     global_buffer
      - .actual_access:  write_only
        .address_space:  global
        .offset:         72
        .size:           8
        .value_kind:     global_buffer
      - .actual_access:  write_only
        .address_space:  global
        .offset:         80
        .size:           8
        .value_kind:     global_buffer
      - .actual_access:  write_only
        .address_space:  global
        .offset:         88
        .size:           8
        .value_kind:     global_buffer
      - .actual_access:  write_only
        .address_space:  global
        .offset:         96
        .size:           8
        .value_kind:     global_buffer
      - .offset:         104
        .size:           4
        .value_kind:     hidden_block_count_x
      - .offset:         108
        .size:           4
        .value_kind:     hidden_block_count_y
      - .offset:         112
        .size:           4
        .value_kind:     hidden_block_count_z
      - .offset:         116
        .size:           2
        .value_kind:     hidden_group_size_x
      - .offset:         118
        .size:           2
        .value_kind:     hidden_group_size_y
      - .offset:         120
        .size:           2
        .value_kind:     hidden_group_size_z
      - .offset:         122
        .size:           2
        .value_kind:     hidden_remainder_x
      - .offset:         124
        .size:           2
        .value_kind:     hidden_remainder_y
      - .offset:         126
        .size:           2
        .value_kind:     hidden_remainder_z
      - .offset:         144
        .size:           8
        .value_kind:     hidden_global_offset_x
      - .offset:         152
        .size:           8
        .value_kind:     hidden_global_offset_y
      - .offset:         160
        .size:           8
        .value_kind:     hidden_global_offset_z
      - .offset:         168
        .size:           2
        .value_kind:     hidden_grid_dims
    .group_segment_fixed_size: 0
    .kernarg_segment_align: 8
    .kernarg_segment_size: 360
    .language:       OpenCL C
    .language_version:
      - 2
      - 0
    .max_flat_workgroup_size: 1024
    .name:           _Z5QRdeliPKfS0_S0_S0_PfS1_S1_S1_S1_S1_S1_S1_
    .private_segment_fixed_size: 0
    .sgpr_count:     32
    .sgpr_spill_count: 0
    .symbol:         _Z5QRdeliPKfS0_S0_S0_PfS1_S1_S1_S1_S1_S1_S1_.kd
    .uniform_work_group_size: 1
    .uses_dynamic_stack: false
    .vgpr_count:     21
    .vgpr_spill_count: 0
    .wavefront_size: 64
  - .args:
      - .offset:         0
        .size:           4
        .value_kind:     by_value
      - .address_space:  global
        .offset:         8
        .size:           8
        .value_kind:     global_buffer
      - .address_space:  global
        .offset:         16
        .size:           8
        .value_kind:     global_buffer
      - .address_space:  global
        .offset:         24
        .size:           8
        .value_kind:     global_buffer
      - .address_space:  global
        .offset:         32
        .size:           8
        .value_kind:     global_buffer
      - .address_space:  global
        .offset:         40
        .size:           8
        .value_kind:     global_buffer
      - .address_space:  global
        .offset:         48
        .size:           8
        .value_kind:     global_buffer
      - .address_space:  global
        .offset:         56
        .size:           8
        .value_kind:     global_buffer
      - .address_space:  global
        .offset:         64
        .size:           8
        .value_kind:     global_buffer
      - .actual_access:  write_only
        .address_space:  global
        .offset:         72
        .size:           8
        .value_kind:     global_buffer
      - .actual_access:  write_only
        .address_space:  global
        .offset:         80
        .size:           8
        .value_kind:     global_buffer
      - .address_space:  global
        .offset:         88
        .size:           8
        .value_kind:     global_buffer
      - .address_space:  global
        .offset:         96
        .size:           8
        .value_kind:     global_buffer
      - .actual_access:  write_only
        .address_space:  global
        .offset:         104
        .size:           8
        .value_kind:     global_buffer
      - .actual_access:  write_only
        .address_space:  global
        .offset:         112
        .size:           8
        .value_kind:     global_buffer
      - .actual_access:  write_only
        .address_space:  global
        .offset:         120
        .size:           8
        .value_kind:     global_buffer
      - .offset:         128
        .size:           4
        .value_kind:     hidden_block_count_x
      - .offset:         132
        .size:           4
        .value_kind:     hidden_block_count_y
      - .offset:         136
        .size:           4
        .value_kind:     hidden_block_count_z
      - .offset:         140
        .size:           2
        .value_kind:     hidden_group_size_x
      - .offset:         142
        .size:           2
        .value_kind:     hidden_group_size_y
      - .offset:         144
        .size:           2
        .value_kind:     hidden_group_size_z
      - .offset:         146
        .size:           2
        .value_kind:     hidden_remainder_x
      - .offset:         148
        .size:           2
        .value_kind:     hidden_remainder_y
      - .offset:         150
        .size:           2
        .value_kind:     hidden_remainder_z
      - .offset:         168
        .size:           8
        .value_kind:     hidden_global_offset_x
      - .offset:         176
        .size:           8
        .value_kind:     hidden_global_offset_y
      - .offset:         184
        .size:           8
        .value_kind:     hidden_global_offset_z
      - .offset:         192
        .size:           2
        .value_kind:     hidden_grid_dims
    .group_segment_fixed_size: 0
    .kernarg_segment_align: 8
    .kernarg_segment_size: 384
    .language:       OpenCL C
    .language_version:
      - 2
      - 0
    .max_flat_workgroup_size: 1024
    .name:           _Z13QuarticSolveriPKfS0_S0_S0_S0_S0_S0_S0_PfS1_S1_S1_S1_S1_S1_
    .private_segment_fixed_size: 0
    .sgpr_count:     40
    .sgpr_spill_count: 0
    .symbol:         _Z13QuarticSolveriPKfS0_S0_S0_S0_S0_S0_S0_PfS1_S1_S1_S1_S1_S1_.kd
    .uniform_work_group_size: 1
    .uses_dynamic_stack: false
    .vgpr_count:     23
    .vgpr_spill_count: 0
    .wavefront_size: 64
amdhsa.target:   amdgcn-amd-amdhsa--gfx906
amdhsa.version:
  - 1
  - 2
...

	.end_amdgpu_metadata
